;; amdgpu-corpus repo=ROCm/rocFFT kind=compiled arch=gfx1201 opt=O3
	.text
	.amdgcn_target "amdgcn-amd-amdhsa--gfx1201"
	.amdhsa_code_object_version 6
	.protected	fft_rtc_fwd_len343_factors_7_7_7_wgs_245_tpt_49_half_op_CI_CI_sbrc_unaligned ; -- Begin function fft_rtc_fwd_len343_factors_7_7_7_wgs_245_tpt_49_half_op_CI_CI_sbrc_unaligned
	.globl	fft_rtc_fwd_len343_factors_7_7_7_wgs_245_tpt_49_half_op_CI_CI_sbrc_unaligned
	.p2align	8
	.type	fft_rtc_fwd_len343_factors_7_7_7_wgs_245_tpt_49_half_op_CI_CI_sbrc_unaligned,@function
fft_rtc_fwd_len343_factors_7_7_7_wgs_245_tpt_49_half_op_CI_CI_sbrc_unaligned: ; @fft_rtc_fwd_len343_factors_7_7_7_wgs_245_tpt_49_half_op_CI_CI_sbrc_unaligned
; %bb.0:
	s_clause 0x1
	s_load_b256 s[4:11], s[0:1], 0x0
	s_load_b64 s[26:27], s[0:1], 0x20
	s_mov_b64 s[36:37], 2
	s_wait_kmcnt 0x0
	s_load_b32 s33, s[8:9], 0x8
	s_load_b128 s[16:19], s[10:11], 0x0
	s_load_b128 s[12:15], s[26:27], 0x0
	s_wait_kmcnt 0x0
	s_add_co_i32 s2, s33, -1
	s_delay_alu instid0(SALU_CYCLE_1) | instskip(NEXT) | instid1(SALU_CYCLE_1)
	s_mul_hi_u32 s2, s2, 0xcccccccd
	s_lshr_b32 s2, s2, 2
	s_delay_alu instid0(SALU_CYCLE_1) | instskip(NEXT) | instid1(SALU_CYCLE_1)
	s_add_co_i32 s42, s2, 1
	s_cvt_f32_u32 s2, s42
	s_sub_co_i32 s3, 0, s42
	s_delay_alu instid0(SALU_CYCLE_2) | instskip(NEXT) | instid1(TRANS32_DEP_1)
	v_rcp_iflag_f32_e32 v1, s2
	v_readfirstlane_b32 s2, v1
	s_delay_alu instid0(VALU_DEP_1) | instskip(SKIP_1) | instid1(SALU_CYCLE_2)
	s_mul_f32 s2, s2, 0x4f7ffffe
	s_wait_alu 0xfffe
	s_cvt_u32_f32 s2, s2
	s_wait_alu 0xfffe
	s_delay_alu instid0(SALU_CYCLE_2)
	s_mul_i32 s3, s3, s2
	s_wait_alu 0xfffe
	s_mul_hi_u32 s3, s2, s3
	s_wait_alu 0xfffe
	s_add_co_i32 s2, s2, s3
	s_wait_alu 0xfffe
	s_mul_hi_u32 s2, ttmp9, s2
	s_wait_alu 0xfffe
	s_mul_i32 s3, s2, s42
	s_add_co_i32 s15, s2, 1
	s_wait_alu 0xfffe
	s_sub_co_i32 s3, ttmp9, s3
	s_wait_alu 0xfffe
	s_sub_co_i32 s19, s3, s42
	s_cmp_ge_u32 s3, s42
	s_cselect_b32 s2, s15, s2
	s_cselect_b32 s3, s19, s3
	s_wait_alu 0xfffe
	s_add_co_i32 s15, s2, 1
	s_cmp_ge_u32 s3, s42
	s_mov_b32 s3, 0
	s_cselect_b32 s24, s15, s2
	v_cmp_gt_u64_e64 s2, s[6:7], 2
	s_mul_i32 s15, s24, s42
	s_wait_alu 0xfffe
	s_mov_b32 s23, s3
	s_sub_co_i32 s15, ttmp9, s15
	s_delay_alu instid0(SALU_CYCLE_1)
	s_mul_i32 s22, s15, 5
	s_and_b32 vcc_lo, exec_lo, s2
	s_mul_i32 s2, s22, s18
	s_mul_u64 s[20:21], s[12:13], s[22:23]
	s_cbranch_vccz .LBB0_8
; %bb.1:
	s_mov_b32 s30, ttmp9
	s_mov_b32 s31, s3
	s_mov_b32 s34, 3
	s_wait_alu 0xfffe
	s_mov_b64 s[28:29], s[2:3]
	s_mov_b32 s2, s24
.LBB0_2:                                ; =>This Inner Loop Header: Depth=1
	s_lshl_b64 s[36:37], s[36:37], 3
	s_mov_b32 s38, s3
	s_add_nc_u64 s[24:25], s[8:9], s[36:37]
	s_load_b64 s[24:25], s[24:25], 0x0
	s_wait_kmcnt 0x0
	s_mov_b32 s39, s25
	s_delay_alu instid0(SALU_CYCLE_1)
	s_cmp_lg_u64 s[38:39], 0
	s_cbranch_scc0 .LBB0_7
; %bb.3:                                ;   in Loop: Header=BB0_2 Depth=1
	s_cvt_f32_u32 s15, s24
	s_cvt_f32_u32 s19, s25
	s_sub_nc_u64 s[44:45], 0, s[24:25]
	s_mov_b32 s39, 0
	s_mov_b32 s49, s3
	s_wait_alu 0xfffe
	s_fmamk_f32 s15, s19, 0x4f800000, s15
	s_wait_alu 0xfffe
	s_delay_alu instid0(SALU_CYCLE_2) | instskip(NEXT) | instid1(TRANS32_DEP_1)
	v_s_rcp_f32 s15, s15
	s_mul_f32 s15, s15, 0x5f7ffffc
	s_wait_alu 0xfffe
	s_delay_alu instid0(SALU_CYCLE_2) | instskip(NEXT) | instid1(SALU_CYCLE_3)
	s_mul_f32 s19, s15, 0x2f800000
	s_trunc_f32 s19, s19
	s_delay_alu instid0(SALU_CYCLE_3) | instskip(SKIP_2) | instid1(SALU_CYCLE_1)
	s_fmamk_f32 s15, s19, 0xcf800000, s15
	s_cvt_u32_f32 s41, s19
	s_wait_alu 0xfffe
	s_cvt_u32_f32 s40, s15
	s_wait_alu 0xfffe
	s_delay_alu instid0(SALU_CYCLE_2)
	s_mul_u64 s[46:47], s[44:45], s[40:41]
	s_wait_alu 0xfffe
	s_mul_hi_u32 s51, s40, s47
	s_mul_i32 s50, s40, s47
	s_mul_hi_u32 s38, s40, s46
	s_mul_i32 s19, s41, s46
	s_add_nc_u64 s[50:51], s[38:39], s[50:51]
	s_mul_hi_u32 s15, s41, s46
	s_mul_hi_u32 s23, s41, s47
	s_add_co_u32 s19, s50, s19
	s_wait_alu 0xfffe
	s_add_co_ci_u32 s48, s51, s15
	s_mul_i32 s46, s41, s47
	s_add_co_ci_u32 s47, s23, 0
	s_wait_alu 0xfffe
	s_add_nc_u64 s[46:47], s[48:49], s[46:47]
	s_wait_alu 0xfffe
	v_add_co_u32 v1, s15, s40, s46
	s_delay_alu instid0(VALU_DEP_1) | instskip(SKIP_1) | instid1(VALU_DEP_1)
	s_cmp_lg_u32 s15, 0
	s_add_co_ci_u32 s41, s41, s47
	v_readfirstlane_b32 s40, v1
	s_mov_b32 s47, s3
	s_wait_alu 0xfffe
	s_delay_alu instid0(VALU_DEP_1)
	s_mul_u64 s[44:45], s[44:45], s[40:41]
	s_wait_alu 0xfffe
	s_mul_hi_u32 s49, s40, s45
	s_mul_i32 s48, s40, s45
	s_mul_hi_u32 s38, s40, s44
	s_mul_i32 s19, s41, s44
	s_add_nc_u64 s[48:49], s[38:39], s[48:49]
	s_mul_hi_u32 s15, s41, s44
	s_mul_hi_u32 s23, s41, s45
	s_add_co_u32 s19, s48, s19
	s_wait_alu 0xfffe
	s_add_co_ci_u32 s46, s49, s15
	s_mul_i32 s44, s41, s45
	s_add_co_ci_u32 s45, s23, 0
	s_wait_alu 0xfffe
	s_add_nc_u64 s[44:45], s[46:47], s[44:45]
	s_mov_b32 s46, s3
	s_wait_alu 0xfffe
	v_add_co_u32 v1, s15, v1, s44
	s_delay_alu instid0(VALU_DEP_1) | instskip(SKIP_1) | instid1(VALU_DEP_1)
	s_cmp_lg_u32 s15, 0
	s_add_co_ci_u32 s19, s41, s45
	v_readfirstlane_b32 s15, v1
	s_mul_hi_u32 s45, s2, s19
	s_mul_i32 s44, s2, s19
	s_mov_b32 s41, s3
	s_delay_alu instid0(VALU_DEP_1)
	s_mul_hi_u32 s38, s2, s15
	s_wait_alu 0xfffe
	s_add_nc_u64 s[44:45], s[38:39], s[44:45]
	s_wait_alu 0xfffe
	s_mov_b32 s40, s45
	s_wait_alu 0xfffe
	s_or_b64 s[40:41], s[40:41], s[46:47]
	s_mov_b32 s40, s45
	s_wait_alu 0xfffe
	s_mul_u64 s[46:47], s[24:25], s[40:41]
	s_add_nc_u64 s[48:49], s[40:41], 1
	s_wait_alu 0xfffe
	v_sub_co_u32 v1, s15, s2, s46
	s_sub_co_i32 s19, 0, s47
	s_cmp_lg_u32 s15, 0
	s_add_nc_u64 s[50:51], s[40:41], 2
	s_delay_alu instid0(VALU_DEP_1) | instskip(SKIP_2) | instid1(VALU_DEP_1)
	v_sub_co_u32 v2, s23, v1, s24
	s_sub_co_ci_u32 s19, s19, s25
	s_cmp_lg_u32 s23, 0
	v_readfirstlane_b32 s23, v2
	s_sub_co_ci_u32 s19, s19, 0
	s_delay_alu instid0(SALU_CYCLE_1) | instskip(SKIP_1) | instid1(VALU_DEP_1)
	s_cmp_ge_u32 s19, s25
	s_cselect_b32 s35, -1, 0
	s_cmp_ge_u32 s23, s24
	s_cselect_b32 s23, -1, 0
	s_cmp_eq_u32 s19, s25
	s_wait_alu 0xfffe
	s_cselect_b32 s19, s23, s35
	s_delay_alu instid0(SALU_CYCLE_1)
	s_cmp_lg_u32 s19, 0
	s_cselect_b32 s19, s50, s48
	s_cselect_b32 s23, s51, s49
	s_cmp_lg_u32 s15, 0
	v_readfirstlane_b32 s15, v1
	s_sub_co_ci_u32 s35, 0, s47
	s_wait_alu 0xfffe
	s_cmp_ge_u32 s35, s25
	s_cselect_b32 s38, -1, 0
	s_cmp_ge_u32 s15, s24
	s_cselect_b32 s15, -1, 0
	s_cmp_eq_u32 s35, s25
	s_wait_alu 0xfffe
	s_cselect_b32 s15, s15, s38
	s_wait_alu 0xfffe
	s_cmp_lg_u32 s15, 0
	s_cselect_b32 s41, s23, s41
	s_cselect_b32 s40, s19, s45
	s_cbranch_execnz .LBB0_5
.LBB0_4:                                ;   in Loop: Header=BB0_2 Depth=1
	v_cvt_f32_u32_e32 v1, s24
	s_sub_co_i32 s19, 0, s24
	s_mov_b32 s41, s3
	s_delay_alu instid0(VALU_DEP_1) | instskip(NEXT) | instid1(TRANS32_DEP_1)
	v_rcp_iflag_f32_e32 v1, v1
	v_mul_f32_e32 v1, 0x4f7ffffe, v1
	s_delay_alu instid0(VALU_DEP_1) | instskip(NEXT) | instid1(VALU_DEP_1)
	v_cvt_u32_f32_e32 v1, v1
	v_readfirstlane_b32 s15, v1
	s_delay_alu instid0(VALU_DEP_1) | instskip(NEXT) | instid1(SALU_CYCLE_1)
	s_mul_i32 s19, s19, s15
	s_mul_hi_u32 s19, s15, s19
	s_delay_alu instid0(SALU_CYCLE_1)
	s_add_co_i32 s15, s15, s19
	s_wait_alu 0xfffe
	s_mul_hi_u32 s15, s2, s15
	s_wait_alu 0xfffe
	s_mul_i32 s19, s15, s24
	s_add_co_i32 s23, s15, 1
	s_sub_co_i32 s19, s2, s19
	s_delay_alu instid0(SALU_CYCLE_1)
	s_sub_co_i32 s35, s19, s24
	s_cmp_ge_u32 s19, s24
	s_cselect_b32 s15, s23, s15
	s_wait_alu 0xfffe
	s_cselect_b32 s19, s35, s19
	s_add_co_i32 s23, s15, 1
	s_cmp_ge_u32 s19, s24
	s_cselect_b32 s40, s23, s15
.LBB0_5:                                ;   in Loop: Header=BB0_2 Depth=1
	s_add_nc_u64 s[38:39], s[10:11], s[36:37]
	s_add_nc_u64 s[36:37], s[26:27], s[36:37]
	s_load_b64 s[38:39], s[38:39], 0x0
	s_load_b64 s[44:45], s[36:37], 0x0
	s_mov_b32 s35, s3
	s_mul_u64 s[36:37], s[40:41], s[24:25]
	s_wait_alu 0xfffe
	v_cmp_ge_u64_e64 s15, s[34:35], s[6:7]
	s_mul_i32 s42, s42, s24
	s_sub_nc_u64 s[24:25], s[2:3], s[36:37]
	s_mov_b64 s[36:37], s[34:35]
	s_add_co_i32 s34, s34, 1
	s_delay_alu instid0(VALU_DEP_1)
	s_and_b32 vcc_lo, exec_lo, s15
	s_wait_kmcnt 0x0
	s_wait_alu 0xfffe
	s_mul_u64 s[38:39], s[38:39], s[24:25]
	s_mul_u64 s[24:25], s[44:45], s[24:25]
	s_add_nc_u64 s[28:29], s[38:39], s[28:29]
	s_wait_alu 0xfffe
	s_add_nc_u64 s[20:21], s[24:25], s[20:21]
	s_cbranch_vccnz .LBB0_9
; %bb.6:                                ;   in Loop: Header=BB0_2 Depth=1
	s_mov_b32 s2, s40
	s_branch .LBB0_2
.LBB0_7:                                ;   in Loop: Header=BB0_2 Depth=1
                                        ; implicit-def: $sgpr40_sgpr41
	s_branch .LBB0_4
.LBB0_8:
	s_wait_alu 0xfffe
	s_mov_b64 s[28:29], s[2:3]
	s_branch .LBB0_10
.LBB0_9:
	s_cvt_f32_u32 s2, s42
	s_sub_co_i32 s3, 0, s42
	s_wait_alu 0xfffe
	s_delay_alu instid0(SALU_CYCLE_1) | instskip(NEXT) | instid1(TRANS32_DEP_1)
	v_rcp_iflag_f32_e32 v1, s2
	v_readfirstlane_b32 s2, v1
	s_delay_alu instid0(VALU_DEP_1) | instskip(SKIP_1) | instid1(SALU_CYCLE_2)
	s_mul_f32 s2, s2, 0x4f7ffffe
	s_wait_alu 0xfffe
	s_cvt_u32_f32 s2, s2
	s_wait_alu 0xfffe
	s_delay_alu instid0(SALU_CYCLE_2)
	s_mul_i32 s3, s3, s2
	s_wait_alu 0xfffe
	s_mul_hi_u32 s8, s2, s3
	s_mov_b32 s3, 0
	s_add_co_i32 s2, s2, s8
	s_wait_alu 0xfffe
	s_mul_u64 s[2:3], s[30:31], s[2:3]
	s_wait_alu 0xfffe
	s_mul_i32 s2, s3, s42
	s_add_co_i32 s8, s3, 1
	s_wait_alu 0xfffe
	s_sub_co_i32 s2, ttmp9, s2
	s_wait_alu 0xfffe
	s_sub_co_i32 s9, s2, s42
	s_cmp_ge_u32 s2, s42
	s_cselect_b32 s3, s8, s3
	s_cselect_b32 s2, s9, s2
	s_wait_alu 0xfffe
	s_add_co_i32 s8, s3, 1
	s_cmp_ge_u32 s2, s42
	s_cselect_b32 s24, s8, s3
.LBB0_10:
	s_lshl_b64 s[6:7], s[6:7], 3
	s_load_b128 s[0:3], s[0:1], 0x58
	s_add_nc_u64 s[8:9], s[10:11], s[6:7]
	s_add_nc_u64 s[6:7], s[26:27], s[6:7]
	s_load_b64 s[8:9], s[8:9], 0x0
	s_load_b64 s[6:7], s[6:7], 0x0
	s_add_co_i32 s11, s22, 5
	s_mov_b32 s25, 0
	s_cmp_le_u32 s11, s33
	v_lshl_add_u32 v3, v0, 2, 0
	s_cselect_b32 s15, -1, 0
	s_mov_b32 s10, -1
	s_wait_alu 0xfffe
	s_and_b32 vcc_lo, exec_lo, s15
	s_wait_kmcnt 0x0
	s_mul_u64 s[8:9], s[8:9], s[24:25]
	s_delay_alu instid0(SALU_CYCLE_1)
	s_add_nc_u64 s[8:9], s[8:9], s[28:29]
	s_cbranch_vccnz .LBB0_14
; %bb.11:
	v_dual_mov_b32 v2, 0 :: v_dual_mov_b32 v5, v3
	v_mov_b32_e32 v4, v0
	s_lshl_b64 s[10:11], s[8:9], 2
	s_mov_b32 s19, s25
	s_add_nc_u64 s[10:11], s[0:1], s[10:11]
.LBB0_12:                               ; =>This Inner Loop Header: Depth=1
	s_delay_alu instid0(VALU_DEP_1) | instskip(NEXT) | instid1(VALU_DEP_1)
	v_and_b32_e32 v1, 0xffff, v4
	v_mul_u32_u24_e32 v1, 0x7e23, v1
	s_delay_alu instid0(VALU_DEP_1) | instskip(NEXT) | instid1(VALU_DEP_1)
	v_lshrrev_b32_e32 v1, 16, v1
	v_sub_nc_u16 v6, v4, v1
	s_delay_alu instid0(VALU_DEP_1) | instskip(NEXT) | instid1(VALU_DEP_1)
	v_lshrrev_b16 v6, 1, v6
	v_add_nc_u16 v1, v6, v1
	s_delay_alu instid0(VALU_DEP_1) | instskip(NEXT) | instid1(VALU_DEP_1)
	v_lshrrev_b16 v9, 8, v1
	v_mul_lo_u16 v1, 0x157, v9
	s_delay_alu instid0(VALU_DEP_1) | instskip(SKIP_1) | instid1(VALU_DEP_2)
	v_sub_nc_u16 v1, v4, v1
	v_add_nc_u32_e32 v4, 0xf5, v4
	v_and_b32_e32 v8, 0xffff, v1
	s_delay_alu instid0(VALU_DEP_1) | instskip(NEXT) | instid1(VALU_DEP_1)
	v_mad_co_u64_u32 v[6:7], null, s16, v8, 0
	v_mov_b32_e32 v1, v7
	s_delay_alu instid0(VALU_DEP_1) | instskip(SKIP_1) | instid1(VALU_DEP_1)
	v_mad_co_u64_u32 v[7:8], null, s17, v8, v[1:2]
	v_and_b32_e32 v1, 0xffff, v9
	v_mul_lo_u32 v1, s18, v1
	s_delay_alu instid0(VALU_DEP_3) | instskip(NEXT) | instid1(VALU_DEP_2)
	v_lshlrev_b64_e32 v[6:7], 2, v[6:7]
	v_lshlrev_b64_e32 v[8:9], 2, v[1:2]
	s_delay_alu instid0(VALU_DEP_2) | instskip(SKIP_1) | instid1(VALU_DEP_3)
	v_add_co_u32 v1, vcc_lo, s10, v6
	s_wait_alu 0xfffd
	v_add_co_ci_u32_e32 v7, vcc_lo, s11, v7, vcc_lo
	s_delay_alu instid0(VALU_DEP_2) | instskip(SKIP_1) | instid1(VALU_DEP_2)
	v_add_co_u32 v6, vcc_lo, v1, v8
	s_wait_alu 0xfffd
	v_add_co_ci_u32_e32 v7, vcc_lo, v7, v9, vcc_lo
	v_cmp_lt_u32_e32 vcc_lo, 0x6b2, v4
	global_load_b32 v1, v[6:7], off
	s_or_b32 s19, vcc_lo, s19
	s_wait_loadcnt 0x0
	ds_store_b32 v5, v1
	v_add_nc_u32_e32 v5, 0x3d4, v5
	s_wait_alu 0xfffe
	s_and_not1_b32 exec_lo, exec_lo, s19
	s_cbranch_execnz .LBB0_12
; %bb.13:
	s_or_b32 exec_lo, exec_lo, s19
	s_mov_b32 s10, 0
.LBB0_14:
	v_and_b32_e32 v1, 0xffff, v0
	s_wait_alu 0xfffe
	s_and_b32 vcc_lo, exec_lo, s10
	s_wait_alu 0xfffe
	s_cbranch_vccz .LBB0_16
; %bb.15:
	v_dual_mov_b32 v7, 0 :: v_dual_add_nc_u32 v2, 0xf5, v0
	v_mad_co_u64_u32 v[4:5], null, s16, v1, 0
	v_add_nc_u32_e32 v11, 0x2df, v0
	s_delay_alu instid0(VALU_DEP_3) | instskip(SKIP_3) | instid1(VALU_DEP_2)
	v_mul_u32_u24_e32 v6, 0x17f, v2
	s_lshl_b64 s[8:9], s[8:9], 2
	v_add_nc_u32_e32 v18, 0x4c9, v0
	s_add_nc_u64 s[0:1], s[0:1], s[8:9]
	v_lshrrev_b32_e32 v10, 17, v6
	v_add_nc_u32_e32 v6, 0x1ea, v0
	s_delay_alu instid0(VALU_DEP_3) | instskip(NEXT) | instid1(VALU_DEP_3)
	v_mul_u32_u24_e32 v24, 0x5f9, v18
	v_mul_lo_u16 v8, 0x157, v10
	s_delay_alu instid0(VALU_DEP_3) | instskip(NEXT) | instid1(VALU_DEP_2)
	v_mul_u32_u24_e32 v9, 0x2fd, v6
	v_sub_nc_u16 v2, v2, v8
	s_delay_alu instid0(VALU_DEP_2) | instskip(NEXT) | instid1(VALU_DEP_2)
	v_lshrrev_b32_e32 v20, 18, v9
	v_dual_mov_b32 v2, v5 :: v_dual_and_b32 v13, 0xffff, v2
	v_mul_u32_u24_e32 v8, 0x2fd, v11
	s_delay_alu instid0(VALU_DEP_3) | instskip(NEXT) | instid1(VALU_DEP_2)
	v_mul_lo_u16 v14, 0x157, v20
	v_lshrrev_b32_e32 v21, 18, v8
	s_delay_alu instid0(VALU_DEP_4) | instskip(SKIP_1) | instid1(VALU_DEP_4)
	v_mad_co_u64_u32 v[8:9], null, s16, v13, 0
	v_add_nc_u32_e32 v17, 0x3d4, v0
	v_sub_nc_u16 v14, v6, v14
	v_mad_co_u64_u32 v[5:6], null, s17, v1, v[2:3]
	v_mul_lo_u32 v6, s18, v10
	v_mov_b32_e32 v2, v9
	v_mul_u32_u24_e32 v12, 0x5f9, v17
	v_and_b32_e32 v23, 0xffff, v14
	v_lshlrev_b64_e32 v[4:5], 2, v[4:5]
	s_delay_alu instid0(VALU_DEP_3) | instskip(SKIP_1) | instid1(VALU_DEP_3)
	v_lshrrev_b32_e32 v22, 19, v12
	v_mul_lo_u16 v12, 0x157, v21
	v_add_co_u32 v4, vcc_lo, s0, v4
	s_delay_alu instid0(VALU_DEP_2) | instskip(SKIP_2) | instid1(VALU_DEP_3)
	v_sub_nc_u16 v9, v11, v12
	v_mad_co_u64_u32 v[12:13], null, s17, v13, v[2:3]
	v_mad_co_u64_u32 v[10:11], null, s16, v23, 0
	v_and_b32_e32 v26, 0xffff, v9
	v_add_nc_u32_e32 v19, 0x5be, v0
	v_lshlrev_b64_e32 v[13:14], 2, v[6:7]
	s_wait_alu 0xfffd
	v_add_co_ci_u32_e32 v5, vcc_lo, s1, v5, vcc_lo
	v_dual_mov_b32 v9, v12 :: v_dual_mov_b32 v2, v11
	v_mad_co_u64_u32 v[15:16], null, s16, v26, 0
	v_mul_lo_u16 v25, 0x157, v22
	s_delay_alu instid0(VALU_DEP_3) | instskip(NEXT) | instid1(VALU_DEP_4)
	v_lshlrev_b64_e32 v[8:9], 2, v[8:9]
	v_mad_co_u64_u32 v[11:12], null, s17, v23, v[2:3]
	v_mul_lo_u32 v6, s18, v20
	v_mov_b32_e32 v2, v16
	s_delay_alu instid0(VALU_DEP_4) | instskip(SKIP_3) | instid1(VALU_DEP_3)
	v_add_co_u32 v12, vcc_lo, s0, v8
	s_wait_alu 0xfffd
	v_add_co_ci_u32_e32 v16, vcc_lo, s1, v9, vcc_lo
	v_lshlrev_b64_e32 v[8:9], 2, v[10:11]
	v_add_co_u32 v10, vcc_lo, v12, v13
	v_mad_co_u64_u32 v[12:13], null, s17, v26, v[2:3]
	v_sub_nc_u16 v2, v17, v25
	v_lshrrev_b32_e32 v25, 19, v24
	v_mul_u32_u24_e32 v13, 0x5f9, v19
	s_wait_alu 0xfffd
	v_add_co_ci_u32_e32 v11, vcc_lo, v16, v14, vcc_lo
	v_add_co_u32 v14, vcc_lo, s0, v8
	v_and_b32_e32 v20, 0xffff, v2
	v_mul_lo_u16 v2, 0x157, v25
	v_lshrrev_b32_e32 v26, 19, v13
	s_wait_alu 0xfffd
	v_add_co_ci_u32_e32 v17, vcc_lo, s1, v9, vcc_lo
	v_lshlrev_b64_e32 v[8:9], 2, v[6:7]
	v_sub_nc_u16 v2, v18, v2
	v_mul_lo_u16 v6, 0x157, v26
	v_mov_b32_e32 v16, v12
	v_mad_co_u64_u32 v[12:13], null, s16, v20, 0
	v_add_co_u32 v8, vcc_lo, v14, v8
	s_wait_alu 0xfffd
	v_add_co_ci_u32_e32 v9, vcc_lo, v17, v9, vcc_lo
	v_sub_nc_u16 v17, v19, v6
	v_mul_lo_u32 v6, s18, v21
	v_dual_mov_b32 v2, v13 :: v_dual_and_b32 v21, 0xffff, v2
	v_lshlrev_b64_e32 v[14:15], 2, v[15:16]
	s_delay_alu instid0(VALU_DEP_4) | instskip(NEXT) | instid1(VALU_DEP_3)
	v_and_b32_e32 v23, 0xffff, v17
	v_mad_co_u64_u32 v[16:17], null, s16, v21, 0
	s_delay_alu instid0(VALU_DEP_4) | instskip(NEXT) | instid1(VALU_DEP_4)
	v_mad_co_u64_u32 v[18:19], null, s17, v20, v[2:3]
	v_add_co_u32 v24, vcc_lo, s0, v14
	s_wait_alu 0xfffd
	v_add_co_ci_u32_e32 v27, vcc_lo, s1, v15, vcc_lo
	s_delay_alu instid0(VALU_DEP_4)
	v_mov_b32_e32 v2, v17
	v_mad_co_u64_u32 v[19:20], null, s16, v23, 0
	v_mov_b32_e32 v13, v18
	v_lshlrev_b64_e32 v[14:15], 2, v[6:7]
	v_mul_lo_u32 v6, s18, v22
	v_mad_co_u64_u32 v[17:18], null, s17, v21, v[2:3]
	s_delay_alu instid0(VALU_DEP_4) | instskip(SKIP_4) | instid1(VALU_DEP_3)
	v_lshlrev_b64_e32 v[12:13], 2, v[12:13]
	v_mov_b32_e32 v2, v20
	v_add_co_u32 v14, vcc_lo, v24, v14
	s_wait_alu 0xfffd
	v_add_co_ci_u32_e32 v15, vcc_lo, v27, v15, vcc_lo
	v_mad_co_u64_u32 v[23:24], null, s17, v23, v[2:3]
	v_lshlrev_b64_e32 v[21:22], 2, v[6:7]
	v_mul_lo_u32 v6, s18, v25
	v_add_co_u32 v2, vcc_lo, s0, v12
	s_wait_alu 0xfffd
	v_add_co_ci_u32_e32 v18, vcc_lo, s1, v13, vcc_lo
	v_mov_b32_e32 v20, v23
	v_lshlrev_b64_e32 v[12:13], 2, v[16:17]
	v_add_co_u32 v16, vcc_lo, v2, v21
	s_wait_alu 0xfffd
	v_add_co_ci_u32_e32 v17, vcc_lo, v18, v22, vcc_lo
	v_lshlrev_b64_e32 v[21:22], 2, v[6:7]
	v_mul_lo_u32 v6, s18, v26
	v_lshlrev_b64_e32 v[18:19], 2, v[19:20]
	v_add_co_u32 v2, vcc_lo, s0, v12
	s_wait_alu 0xfffd
	v_add_co_ci_u32_e32 v13, vcc_lo, s1, v13, vcc_lo
	s_delay_alu instid0(VALU_DEP_3)
	v_add_co_u32 v18, vcc_lo, s0, v18
	v_lshlrev_b64_e32 v[6:7], 2, v[6:7]
	s_wait_alu 0xfffd
	v_add_co_ci_u32_e32 v19, vcc_lo, s1, v19, vcc_lo
	v_add_co_u32 v12, vcc_lo, v2, v21
	s_wait_alu 0xfffd
	v_add_co_ci_u32_e32 v13, vcc_lo, v13, v22, vcc_lo
	v_add_co_u32 v6, vcc_lo, v18, v6
	s_wait_alu 0xfffd
	v_add_co_ci_u32_e32 v7, vcc_lo, v19, v7, vcc_lo
	s_clause 0x6
	global_load_b32 v2, v[4:5], off
	global_load_b32 v4, v[10:11], off
	;; [unrolled: 1-line block ×7, first 2 shown]
	v_add_nc_u32_e32 v11, 0xf40, v3
	v_add_nc_u32_e32 v7, 0x780, v3
	s_wait_loadcnt 0x5
	ds_store_2addr_b32 v3, v2, v4 offset1:245
	s_wait_loadcnt 0x3
	ds_store_2addr_b32 v7, v5, v8 offset0:10 offset1:255
	s_wait_loadcnt 0x1
	ds_store_2addr_b32 v11, v9, v10 offset0:4 offset1:249
	s_wait_loadcnt 0x0
	ds_store_b32 v3, v6 offset:5880
.LBB0_16:
	v_mul_u32_u24_e32 v1, 0x53a, v1
	v_mul_hi_u32 v3, 0x539782a, v0
	global_wb scope:SCOPE_SE
	s_wait_dscnt 0x0
	s_barrier_signal -1
	s_barrier_wait -1
	v_lshrrev_b32_e32 v1, 16, v1
	global_inv scope:SCOPE_SE
	v_mul_u32_u24_e32 v3, 49, v3
	v_add_nc_u32_e32 v1, s22, v1
	s_delay_alu instid0(VALU_DEP_2) | instskip(NEXT) | instid1(VALU_DEP_2)
	v_sub_nc_u32_e32 v16, v0, v3
	v_mul_hi_u32 v2, 0xcccccccd, v1
	s_delay_alu instid0(VALU_DEP_2) | instskip(NEXT) | instid1(VALU_DEP_2)
	v_lshlrev_b32_e32 v3, 2, v16
	v_lshrrev_b32_e32 v2, 2, v2
	s_delay_alu instid0(VALU_DEP_1) | instskip(NEXT) | instid1(VALU_DEP_1)
	v_lshl_add_u32 v2, v2, 2, v2
	v_sub_nc_u32_e32 v1, v1, v2
	v_mul_lo_u16 v2, v16, 37
	s_delay_alu instid0(VALU_DEP_2) | instskip(NEXT) | instid1(VALU_DEP_2)
	v_mul_u32_u24_e32 v1, 0x157, v1
	v_lshrrev_b16 v18, 8, v2
	s_delay_alu instid0(VALU_DEP_2) | instskip(NEXT) | instid1(VALU_DEP_2)
	v_lshlrev_b32_e32 v17, 2, v1
	v_mul_lo_u16 v4, v18, 7
	v_and_b32_e32 v18, 0xffff, v18
	s_delay_alu instid0(VALU_DEP_3) | instskip(NEXT) | instid1(VALU_DEP_3)
	v_add3_u32 v1, 0, v3, v17
	v_sub_nc_u16 v10, v16, v4
	v_add3_u32 v3, 0, v17, v3
	s_delay_alu instid0(VALU_DEP_4) | instskip(NEXT) | instid1(VALU_DEP_4)
	v_mad_u32_u24 v18, 0xc4, v18, 0
	v_add_nc_u32_e32 v2, 0x200, v1
	s_delay_alu instid0(VALU_DEP_4)
	v_and_b32_e32 v19, 0xff, v10
	v_mad_u32_u24 v12, v16, 24, v1
	v_mul_u32_u24_e32 v16, 6, v16
	ds_load_2addr_b32 v[4:5], v1 offset0:49 offset1:98
	ds_load_2addr_b32 v[6:7], v2 offset0:117 offset1:166
	;; [unrolled: 1-line block ×3, first 2 shown]
	ds_load_b32 v11, v3
	v_mul_u32_u24_e32 v10, 6, v19
	global_wb scope:SCOPE_SE
	s_wait_dscnt 0x0
	s_barrier_signal -1
	s_barrier_wait -1
	global_inv scope:SCOPE_SE
	v_lshlrev_b32_e32 v10, 2, v10
	v_lshlrev_b32_e32 v19, 2, v19
	;; [unrolled: 1-line block ×3, first 2 shown]
	s_delay_alu instid0(VALU_DEP_2)
	v_add3_u32 v17, v18, v19, v17
	v_pk_add_f16 v13, v4, v7
	v_pk_add_f16 v14, v5, v6
	;; [unrolled: 1-line block ×3, first 2 shown]
	v_pk_add_f16 v8, v9, v8 neg_lo:[0,1] neg_hi:[0,1]
	v_pk_add_f16 v5, v5, v6 neg_lo:[0,1] neg_hi:[0,1]
	;; [unrolled: 1-line block ×3, first 2 shown]
	v_pk_add_f16 v6, v14, v13
	v_pk_add_f16 v7, v14, v13 neg_lo:[0,1] neg_hi:[0,1]
	v_pk_add_f16 v9, v13, v15 neg_lo:[0,1] neg_hi:[0,1]
	v_pk_add_f16 v13, v8, v5 op_sel:[1,1] op_sel_hi:[0,0]
	v_pk_add_f16 v20, v4, v8 op_sel:[1,1] op_sel_hi:[0,0] neg_lo:[0,1] neg_hi:[0,1]
	v_pk_add_f16 v21, v5, v4 op_sel:[1,1] op_sel_hi:[0,0] neg_lo:[0,1] neg_hi:[0,1]
	v_pk_add_f16 v6, v15, v6
	v_pk_add_f16 v14, v15, v14 neg_lo:[0,1] neg_hi:[0,1]
	v_pk_add_f16 v5, v8, v5 op_sel:[1,1] op_sel_hi:[0,0] neg_lo:[0,1] neg_hi:[0,1]
	v_pk_add_f16 v4, v13, v4 op_sel:[0,1] op_sel_hi:[1,0]
	v_pk_mul_f16 v8, 0x3a52, v9 op_sel_hi:[0,1]
	v_pk_mul_f16 v9, 0x3b00, v21 op_sel_hi:[0,1]
	;; [unrolled: 1-line block ×3, first 2 shown]
	v_pk_add_f16 v11, v6, v11
	v_pk_mul_f16 v15, 0x3574, v20 op_sel_hi:[0,1]
	v_pk_fma_f16 v7, 0x39e0, v7, v8 op_sel_hi:[0,1,1] neg_lo:[0,1,1] neg_hi:[0,1,1]
	v_pk_fma_f16 v20, 0x3574, v20, v9 op_sel_hi:[0,1,1] neg_lo:[0,1,1] neg_hi:[0,1,1]
	;; [unrolled: 1-line block ×3, first 2 shown]
	v_pk_fma_f16 v6, 0xbcab, v6, v11 op_sel_hi:[0,1,1]
	v_pk_fma_f16 v9, 0xb846, v5, v9 op_sel_hi:[0,1,1] neg_lo:[0,1,0] neg_hi:[0,1,0]
	v_pk_fma_f16 v8, 0x2b26, v14, v8 op_sel_hi:[0,1,1]
	v_pk_fma_f16 v5, 0xb846, v5, v15 op_sel_hi:[0,1,1]
	;; [unrolled: 1-line block ×3, first 2 shown]
	v_pk_add_f16 v7, v7, v6
	v_pk_fma_f16 v9, 0x370e, v4, v9 op_sel_hi:[0,1,1]
	v_pk_add_f16 v13, v13, v6
	v_pk_fma_f16 v4, 0x370e, v4, v5 op_sel_hi:[0,1,1]
	v_pk_add_f16 v5, v8, v6
	v_pk_add_f16 v6, v7, v14
	v_pk_add_f16 v7, v7, v14 neg_lo:[0,1] neg_hi:[0,1]
	v_pk_add_f16 v8, v13, v9 neg_lo:[0,1] neg_hi:[0,1]
	v_pk_add_f16 v9, v13, v9
	v_pk_add_f16 v13, v5, v4
	v_pk_add_f16 v4, v5, v4 neg_lo:[0,1] neg_hi:[0,1]
	v_bfi_b32 v5, 0xffff, v6, v7
	v_bfi_b32 v6, 0xffff, v7, v6
	;; [unrolled: 1-line block ×6, first 2 shown]
	ds_store_b32 v12, v11
	ds_store_2addr_b32 v12, v9, v5 offset0:1 offset1:2
	ds_store_2addr_b32 v12, v14, v8 offset0:3 offset1:4
	;; [unrolled: 1-line block ×3, first 2 shown]
	global_wb scope:SCOPE_SE
	s_wait_dscnt 0x0
	s_barrier_signal -1
	s_barrier_wait -1
	global_inv scope:SCOPE_SE
	s_clause 0x1
	global_load_b128 v[4:7], v10, s[4:5]
	global_load_b64 v[8:9], v10, s[4:5] offset:16
	ds_load_2addr_b32 v[10:11], v1 offset0:49 offset1:98
	ds_load_2addr_b32 v[12:13], v1 offset0:147 offset1:196
	;; [unrolled: 1-line block ×3, first 2 shown]
	ds_load_b32 v20, v3
	global_wb scope:SCOPE_SE
	s_wait_loadcnt_dscnt 0x0
	s_barrier_signal -1
	s_barrier_wait -1
	global_inv scope:SCOPE_SE
	v_lshrrev_b32_e32 v18, 16, v10
	v_lshrrev_b32_e32 v19, 16, v11
	;; [unrolled: 1-line block ×13, first 2 shown]
	v_mul_f16_e32 v32, v26, v18
	v_mul_f16_e32 v26, v26, v10
	;; [unrolled: 1-line block ×12, first 2 shown]
	v_fma_f16 v10, v4, v10, -v32
	v_fmac_f16_e32 v26, v4, v18
	v_fma_f16 v4, v5, v11, -v33
	v_fmac_f16_e32 v27, v5, v19
	;; [unrolled: 2-line block ×3, first 2 shown]
	v_fma_f16 v6, v7, v13, -v35
	v_fma_f16 v11, v9, v15, -v37
	v_fmac_f16_e32 v31, v9, v24
	v_fmac_f16_e32 v29, v7, v22
	v_fma_f16 v7, v8, v14, -v36
	v_fmac_f16_e32 v30, v8, v23
	v_add_f16_e32 v8, v10, v11
	v_add_f16_e32 v9, v26, v31
	v_sub_f16_e32 v10, v10, v11
	v_add_f16_e32 v12, v4, v7
	v_add_f16_e32 v13, v27, v30
	v_sub_f16_e32 v11, v26, v31
	v_sub_f16_e32 v4, v4, v7
	;; [unrolled: 1-line block ×3, first 2 shown]
	v_add_f16_e32 v14, v5, v6
	v_add_f16_e32 v15, v28, v29
	v_sub_f16_e32 v5, v6, v5
	v_sub_f16_e32 v6, v29, v28
	v_add_f16_e32 v18, v12, v8
	v_add_f16_e32 v19, v13, v9
	v_sub_f16_e32 v21, v12, v8
	v_sub_f16_e32 v22, v13, v9
	;; [unrolled: 1-line block ×6, first 2 shown]
	v_add_f16_e32 v23, v5, v4
	v_add_f16_e32 v24, v6, v7
	v_sub_f16_e32 v26, v5, v4
	v_sub_f16_e32 v27, v6, v7
	;; [unrolled: 1-line block ×3, first 2 shown]
	v_add_f16_e32 v14, v14, v18
	v_add_f16_e32 v15, v15, v19
	v_sub_f16_e32 v4, v4, v10
	v_sub_f16_e32 v5, v10, v5
	;; [unrolled: 1-line block ×3, first 2 shown]
	v_add_f16_e32 v10, v23, v10
	v_add_f16_e32 v11, v24, v11
	v_mul_f16_e32 v8, 0x3a52, v8
	v_mul_f16_e32 v9, 0x3a52, v9
	;; [unrolled: 1-line block ×7, first 2 shown]
	v_add_f16_e32 v20, v14, v20
	v_add_f16_e32 v25, v15, v25
	v_mul_f16_e32 v26, 0x3b00, v4
	v_fmamk_f16 v12, v12, 0x2b26, v8
	v_fmamk_f16 v13, v13, 0x2b26, v9
	v_fma_f16 v18, v21, 0x39e0, -v18
	v_fma_f16 v19, v22, 0x39e0, -v19
	;; [unrolled: 1-line block ×4, first 2 shown]
	v_fmamk_f16 v21, v5, 0x3574, v23
	v_fmamk_f16 v22, v6, 0x3574, v24
	v_fma_f16 v4, v4, 0x3b00, -v23
	v_fma_f16 v7, v7, 0x3b00, -v24
	;; [unrolled: 1-line block ×3, first 2 shown]
	v_lshlrev_b32_e32 v23, 16, v25
	v_and_b32_e32 v24, 0xffff, v20
	v_fmac_f16_e32 v20, 0xbcab, v14
	v_fmac_f16_e32 v25, 0xbcab, v15
	v_fma_f16 v5, v5, 0xb574, -v26
	v_fmac_f16_e32 v21, 0x370e, v10
	v_fmac_f16_e32 v22, 0x370e, v11
	;; [unrolled: 1-line block ×4, first 2 shown]
	v_add_f16_e32 v11, v12, v20
	v_add_f16_e32 v12, v13, v25
	v_fmac_f16_e32 v4, 0x370e, v10
	v_fmac_f16_e32 v5, 0x370e, v10
	v_add_f16_e32 v13, v18, v20
	v_add_f16_e32 v8, v8, v20
	;; [unrolled: 1-line block ×5, first 2 shown]
	v_sub_f16_e32 v18, v12, v21
	v_or_b32_e32 v10, v23, v24
	v_add_f16_e32 v19, v6, v8
	v_sub_f16_e32 v20, v9, v5
	v_sub_f16_e32 v23, v13, v7
	v_add_f16_e32 v24, v4, v14
	v_add_f16_e32 v7, v7, v13
	v_sub_f16_e32 v4, v14, v4
	v_sub_f16_e32 v6, v8, v6
	v_add_f16_e32 v5, v5, v9
	v_sub_f16_e32 v8, v11, v22
	v_add_f16_e32 v9, v21, v12
	v_pack_b32_f16 v11, v15, v18
	v_pack_b32_f16 v12, v19, v20
	;; [unrolled: 1-line block ×6, first 2 shown]
	ds_store_2addr_b32 v17, v10, v11 offset1:7
	ds_store_2addr_b32 v17, v12, v13 offset0:14 offset1:21
	ds_store_2addr_b32 v17, v4, v5 offset0:28 offset1:35
	ds_store_b32 v17, v6 offset:168
	global_wb scope:SCOPE_SE
	s_wait_dscnt 0x0
	s_barrier_signal -1
	s_barrier_wait -1
	global_inv scope:SCOPE_SE
	s_clause 0x1
	global_load_b128 v[5:8], v16, s[4:5] offset:168
	global_load_b64 v[9:10], v16, s[4:5] offset:184
	v_mul_hi_u32 v4, 0x33333334, v0
	s_delay_alu instid0(VALU_DEP_1) | instskip(NEXT) | instid1(VALU_DEP_1)
	v_mul_u32_u24_e32 v11, 5, v4
	v_sub_nc_u32_e32 v0, v0, v11
	ds_load_2addr_b32 v[11:12], v1 offset0:49 offset1:98
	ds_load_2addr_b32 v[13:14], v1 offset0:147 offset1:196
	;; [unrolled: 1-line block ×3, first 2 shown]
	ds_load_b32 v3, v3
	global_wb scope:SCOPE_SE
	s_wait_loadcnt_dscnt 0x0
	s_barrier_signal -1
	v_add_nc_u32_e32 v2, s22, v0
	s_barrier_wait -1
	global_inv scope:SCOPE_SE
	v_cmp_gt_u32_e32 vcc_lo, s33, v2
	s_or_b32 s0, s15, vcc_lo
	v_lshrrev_b32_e32 v2, 16, v11
	v_lshrrev_b32_e32 v17, 16, v12
	;; [unrolled: 1-line block ×13, first 2 shown]
	v_mul_f16_e32 v29, v23, v2
	v_mul_f16_e32 v23, v23, v11
	;; [unrolled: 1-line block ×12, first 2 shown]
	v_fma_f16 v11, v5, v11, -v29
	v_fmac_f16_e32 v23, v5, v2
	v_fma_f16 v2, v6, v12, -v30
	v_fmac_f16_e32 v24, v6, v17
	;; [unrolled: 2-line block ×3, first 2 shown]
	v_fma_f16 v6, v8, v14, -v32
	v_fma_f16 v7, v10, v16, -v34
	v_fmac_f16_e32 v28, v10, v21
	v_fmac_f16_e32 v26, v8, v19
	v_fma_f16 v8, v9, v15, -v33
	v_fmac_f16_e32 v27, v9, v20
	v_add_f16_e32 v9, v11, v7
	v_add_f16_e32 v10, v23, v28
	v_sub_f16_e32 v7, v11, v7
	v_add_f16_e32 v12, v2, v8
	v_add_f16_e32 v13, v24, v27
	v_sub_f16_e32 v11, v23, v28
	v_sub_f16_e32 v2, v2, v8
	;; [unrolled: 1-line block ×3, first 2 shown]
	v_add_f16_e32 v14, v5, v6
	v_add_f16_e32 v15, v25, v26
	v_sub_f16_e32 v5, v6, v5
	v_sub_f16_e32 v6, v26, v25
	v_add_f16_e32 v16, v12, v9
	v_add_f16_e32 v17, v13, v10
	v_sub_f16_e32 v18, v12, v9
	v_sub_f16_e32 v19, v13, v10
	;; [unrolled: 1-line block ×6, first 2 shown]
	v_add_f16_e32 v20, v5, v2
	v_add_f16_e32 v21, v6, v8
	v_sub_f16_e32 v23, v5, v2
	v_sub_f16_e32 v24, v6, v8
	;; [unrolled: 1-line block ×3, first 2 shown]
	v_add_f16_e32 v14, v14, v16
	v_add_f16_e32 v15, v15, v17
	v_sub_f16_e32 v2, v2, v7
	v_sub_f16_e32 v5, v7, v5
	;; [unrolled: 1-line block ×3, first 2 shown]
	v_add_f16_e32 v7, v20, v7
	v_add_f16_e32 v11, v21, v11
	v_mul_f16_e32 v9, 0x3a52, v9
	v_mul_f16_e32 v10, 0x3a52, v10
	;; [unrolled: 1-line block ×7, first 2 shown]
	v_add_f16_e32 v3, v14, v3
	v_add_f16_e32 v22, v15, v22
	v_mul_f16_e32 v23, 0x3b00, v2
	v_fmamk_f16 v12, v12, 0x2b26, v9
	v_fmamk_f16 v13, v13, 0x2b26, v10
	v_fma_f16 v16, v18, 0x39e0, -v16
	v_fma_f16 v17, v19, 0x39e0, -v17
	;; [unrolled: 1-line block ×4, first 2 shown]
	v_fmamk_f16 v18, v5, 0x3574, v20
	v_fmamk_f16 v19, v6, 0x3574, v21
	v_fma_f16 v2, v2, 0x3b00, -v20
	v_fma_f16 v8, v8, 0x3b00, -v21
	v_fma_f16 v6, v6, 0xb574, -v24
	v_lshlrev_b32_e32 v20, 16, v22
	v_and_b32_e32 v21, 0xffff, v3
	v_fmac_f16_e32 v3, 0xbcab, v14
	v_fmac_f16_e32 v22, 0xbcab, v15
	v_fma_f16 v5, v5, 0xb574, -v23
	v_fmac_f16_e32 v18, 0x370e, v7
	v_fmac_f16_e32 v19, 0x370e, v11
	;; [unrolled: 1-line block ×4, first 2 shown]
	v_add_f16_e32 v11, v12, v3
	v_add_f16_e32 v12, v13, v22
	v_fmac_f16_e32 v2, 0x370e, v7
	v_fmac_f16_e32 v5, 0x370e, v7
	v_add_f16_e32 v13, v16, v3
	v_add_f16_e32 v3, v9, v3
	;; [unrolled: 1-line block ×5, first 2 shown]
	v_sub_f16_e32 v15, v12, v18
	v_or_b32_e32 v7, v20, v21
	v_add_f16_e32 v16, v6, v3
	v_sub_f16_e32 v17, v9, v5
	v_sub_f16_e32 v20, v13, v8
	v_add_f16_e32 v21, v2, v10
	v_add_f16_e32 v8, v8, v13
	v_sub_f16_e32 v2, v10, v2
	v_sub_f16_e32 v3, v3, v6
	v_add_f16_e32 v5, v5, v9
	v_sub_f16_e32 v6, v11, v19
	v_add_f16_e32 v9, v18, v12
	v_pack_b32_f16 v10, v14, v15
	v_pack_b32_f16 v11, v16, v17
	;; [unrolled: 1-line block ×6, first 2 shown]
	ds_store_2addr_b32 v1, v7, v10 offset1:49
	ds_store_2addr_b32 v1, v11, v12 offset0:98 offset1:147
	ds_store_2addr_b32 v1, v2, v3 offset0:196 offset1:245
	ds_store_b32 v1, v5 offset:1176
	global_wb scope:SCOPE_SE
	s_wait_dscnt 0x0
	s_barrier_signal -1
	s_barrier_wait -1
	global_inv scope:SCOPE_SE
	s_wait_alu 0xfffe
	s_and_saveexec_b32 s1, s0
	s_cbranch_execz .LBB0_18
; %bb.17:
	v_mad_co_u64_u32 v[1:2], null, s12, v0, 0
	v_dual_mov_b32 v6, 0 :: v_dual_lshlrev_b32 v7, 2, v4
	v_mul_lo_u32 v5, v4, s14
	s_mul_u64 s[0:1], s[6:7], s[24:25]
	s_mul_i32 s6, s14, 49
	s_wait_alu 0xfffe
	s_lshl_b64 s[0:1], s[0:1], 2
	s_delay_alu instid0(VALU_DEP_3)
	v_mad_co_u64_u32 v[2:3], null, s13, v0, v[2:3]
	v_mul_i32_i24_e32 v0, 0x55c, v0
	s_lshl_b64 s[4:5], s[20:21], 2
	v_lshlrev_b64_e32 v[3:4], 2, v[5:6]
	v_add_nc_u32_e32 v5, s6, v5
	s_wait_alu 0xfffe
	s_add_nc_u64 s[0:1], s[2:3], s[0:1]
	v_add3_u32 v15, 0, v0, v7
	v_lshlrev_b64_e32 v[0:1], 2, v[1:2]
	s_wait_alu 0xfffe
	s_add_nc_u64 s[0:1], s[0:1], s[4:5]
	v_lshlrev_b64_e32 v[7:8], 2, v[5:6]
	v_add_nc_u32_e32 v5, s6, v5
	ds_load_2addr_b32 v[9:10], v15 offset1:49
	s_wait_alu 0xfffe
	v_add_co_u32 v16, vcc_lo, s0, v0
	s_wait_alu 0xfffd
	v_add_co_ci_u32_e32 v17, vcc_lo, s1, v1, vcc_lo
	v_lshlrev_b64_e32 v[11:12], 2, v[5:6]
	v_add_nc_u32_e32 v5, s6, v5
	v_add_co_u32 v0, vcc_lo, v16, v3
	s_wait_alu 0xfffd
	v_add_co_ci_u32_e32 v1, vcc_lo, v17, v4, vcc_lo
	v_add_co_u32 v2, vcc_lo, v16, v7
	v_lshlrev_b64_e32 v[13:14], 2, v[5:6]
	v_add_nc_u32_e32 v5, s6, v5
	s_wait_alu 0xfffd
	v_add_co_ci_u32_e32 v3, vcc_lo, v17, v8, vcc_lo
	ds_load_2addr_b32 v[7:8], v15 offset0:98 offset1:147
	s_wait_dscnt 0x1
	s_clause 0x1
	global_store_b32 v[0:1], v9, off
	global_store_b32 v[2:3], v10, off
	v_add_co_u32 v0, vcc_lo, v16, v11
	v_lshlrev_b64_e32 v[9:10], 2, v[5:6]
	v_add_nc_u32_e32 v5, s6, v5
	ds_load_2addr_b32 v[2:3], v15 offset0:196 offset1:245
	s_wait_alu 0xfffd
	v_add_co_ci_u32_e32 v1, vcc_lo, v17, v12, vcc_lo
	v_add_co_u32 v11, vcc_lo, v16, v13
	ds_load_b32 v15, v15 offset:1176
	s_wait_alu 0xfffd
	v_add_co_ci_u32_e32 v12, vcc_lo, v17, v14, vcc_lo
	v_lshlrev_b64_e32 v[13:14], 2, v[5:6]
	v_add_nc_u32_e32 v5, s6, v5
	v_add_co_u32 v9, vcc_lo, v16, v9
	s_wait_alu 0xfffd
	v_add_co_ci_u32_e32 v10, vcc_lo, v17, v10, vcc_lo
	s_delay_alu instid0(VALU_DEP_3) | instskip(SKIP_3) | instid1(VALU_DEP_3)
	v_lshlrev_b64_e32 v[4:5], 2, v[5:6]
	v_add_co_u32 v13, vcc_lo, v16, v13
	s_wait_alu 0xfffd
	v_add_co_ci_u32_e32 v14, vcc_lo, v17, v14, vcc_lo
	v_add_co_u32 v4, vcc_lo, v16, v4
	s_wait_alu 0xfffd
	v_add_co_ci_u32_e32 v5, vcc_lo, v17, v5, vcc_lo
	s_wait_dscnt 0x2
	s_clause 0x1
	global_store_b32 v[0:1], v7, off
	global_store_b32 v[11:12], v8, off
	s_wait_dscnt 0x1
	s_clause 0x1
	global_store_b32 v[9:10], v2, off
	global_store_b32 v[13:14], v3, off
	s_wait_dscnt 0x0
	global_store_b32 v[4:5], v15, off
.LBB0_18:
	s_nop 0
	s_sendmsg sendmsg(MSG_DEALLOC_VGPRS)
	s_endpgm
	.section	.rodata,"a",@progbits
	.p2align	6, 0x0
	.amdhsa_kernel fft_rtc_fwd_len343_factors_7_7_7_wgs_245_tpt_49_half_op_CI_CI_sbrc_unaligned
		.amdhsa_group_segment_fixed_size 0
		.amdhsa_private_segment_fixed_size 0
		.amdhsa_kernarg_size 104
		.amdhsa_user_sgpr_count 2
		.amdhsa_user_sgpr_dispatch_ptr 0
		.amdhsa_user_sgpr_queue_ptr 0
		.amdhsa_user_sgpr_kernarg_segment_ptr 1
		.amdhsa_user_sgpr_dispatch_id 0
		.amdhsa_user_sgpr_private_segment_size 0
		.amdhsa_wavefront_size32 1
		.amdhsa_uses_dynamic_stack 0
		.amdhsa_enable_private_segment 0
		.amdhsa_system_sgpr_workgroup_id_x 1
		.amdhsa_system_sgpr_workgroup_id_y 0
		.amdhsa_system_sgpr_workgroup_id_z 0
		.amdhsa_system_sgpr_workgroup_info 0
		.amdhsa_system_vgpr_workitem_id 0
		.amdhsa_next_free_vgpr 38
		.amdhsa_next_free_sgpr 52
		.amdhsa_reserve_vcc 1
		.amdhsa_float_round_mode_32 0
		.amdhsa_float_round_mode_16_64 0
		.amdhsa_float_denorm_mode_32 3
		.amdhsa_float_denorm_mode_16_64 3
		.amdhsa_fp16_overflow 0
		.amdhsa_workgroup_processor_mode 1
		.amdhsa_memory_ordered 1
		.amdhsa_forward_progress 0
		.amdhsa_round_robin_scheduling 0
		.amdhsa_exception_fp_ieee_invalid_op 0
		.amdhsa_exception_fp_denorm_src 0
		.amdhsa_exception_fp_ieee_div_zero 0
		.amdhsa_exception_fp_ieee_overflow 0
		.amdhsa_exception_fp_ieee_underflow 0
		.amdhsa_exception_fp_ieee_inexact 0
		.amdhsa_exception_int_div_zero 0
	.end_amdhsa_kernel
	.text
.Lfunc_end0:
	.size	fft_rtc_fwd_len343_factors_7_7_7_wgs_245_tpt_49_half_op_CI_CI_sbrc_unaligned, .Lfunc_end0-fft_rtc_fwd_len343_factors_7_7_7_wgs_245_tpt_49_half_op_CI_CI_sbrc_unaligned
                                        ; -- End function
	.section	.AMDGPU.csdata,"",@progbits
; Kernel info:
; codeLenInByte = 5696
; NumSgprs: 54
; NumVgprs: 38
; ScratchSize: 0
; MemoryBound: 0
; FloatMode: 240
; IeeeMode: 1
; LDSByteSize: 0 bytes/workgroup (compile time only)
; SGPRBlocks: 6
; VGPRBlocks: 4
; NumSGPRsForWavesPerEU: 54
; NumVGPRsForWavesPerEU: 38
; Occupancy: 16
; WaveLimiterHint : 1
; COMPUTE_PGM_RSRC2:SCRATCH_EN: 0
; COMPUTE_PGM_RSRC2:USER_SGPR: 2
; COMPUTE_PGM_RSRC2:TRAP_HANDLER: 0
; COMPUTE_PGM_RSRC2:TGID_X_EN: 1
; COMPUTE_PGM_RSRC2:TGID_Y_EN: 0
; COMPUTE_PGM_RSRC2:TGID_Z_EN: 0
; COMPUTE_PGM_RSRC2:TIDIG_COMP_CNT: 0
	.text
	.p2alignl 7, 3214868480
	.fill 96, 4, 3214868480
	.type	__hip_cuid_b80688e9e2333409,@object ; @__hip_cuid_b80688e9e2333409
	.section	.bss,"aw",@nobits
	.globl	__hip_cuid_b80688e9e2333409
__hip_cuid_b80688e9e2333409:
	.byte	0                               ; 0x0
	.size	__hip_cuid_b80688e9e2333409, 1

	.ident	"AMD clang version 19.0.0git (https://github.com/RadeonOpenCompute/llvm-project roc-6.4.0 25133 c7fe45cf4b819c5991fe208aaa96edf142730f1d)"
	.section	".note.GNU-stack","",@progbits
	.addrsig
	.addrsig_sym __hip_cuid_b80688e9e2333409
	.amdgpu_metadata
---
amdhsa.kernels:
  - .args:
      - .actual_access:  read_only
        .address_space:  global
        .offset:         0
        .size:           8
        .value_kind:     global_buffer
      - .offset:         8
        .size:           8
        .value_kind:     by_value
      - .actual_access:  read_only
        .address_space:  global
        .offset:         16
        .size:           8
        .value_kind:     global_buffer
      - .actual_access:  read_only
        .address_space:  global
        .offset:         24
        .size:           8
        .value_kind:     global_buffer
      - .actual_access:  read_only
        .address_space:  global
        .offset:         32
        .size:           8
        .value_kind:     global_buffer
      - .offset:         40
        .size:           8
        .value_kind:     by_value
      - .actual_access:  read_only
        .address_space:  global
        .offset:         48
        .size:           8
        .value_kind:     global_buffer
      - .actual_access:  read_only
        .address_space:  global
        .offset:         56
        .size:           8
        .value_kind:     global_buffer
      - .offset:         64
        .size:           4
        .value_kind:     by_value
      - .actual_access:  read_only
        .address_space:  global
        .offset:         72
        .size:           8
        .value_kind:     global_buffer
      - .actual_access:  read_only
        .address_space:  global
        .offset:         80
        .size:           8
        .value_kind:     global_buffer
      - .actual_access:  read_only
        .address_space:  global
        .offset:         88
        .size:           8
        .value_kind:     global_buffer
      - .actual_access:  write_only
        .address_space:  global
        .offset:         96
        .size:           8
        .value_kind:     global_buffer
    .group_segment_fixed_size: 0
    .kernarg_segment_align: 8
    .kernarg_segment_size: 104
    .language:       OpenCL C
    .language_version:
      - 2
      - 0
    .max_flat_workgroup_size: 245
    .name:           fft_rtc_fwd_len343_factors_7_7_7_wgs_245_tpt_49_half_op_CI_CI_sbrc_unaligned
    .private_segment_fixed_size: 0
    .sgpr_count:     54
    .sgpr_spill_count: 0
    .symbol:         fft_rtc_fwd_len343_factors_7_7_7_wgs_245_tpt_49_half_op_CI_CI_sbrc_unaligned.kd
    .uniform_work_group_size: 1
    .uses_dynamic_stack: false
    .vgpr_count:     38
    .vgpr_spill_count: 0
    .wavefront_size: 32
    .workgroup_processor_mode: 1
amdhsa.target:   amdgcn-amd-amdhsa--gfx1201
amdhsa.version:
  - 1
  - 2
...

	.end_amdgpu_metadata
